;; amdgpu-corpus repo=zjin-lcf/HeCBench kind=compiled arch=gfx1250 opt=O3
	.amdgcn_target "amdgcn-amd-amdhsa--gfx1250"
	.amdhsa_code_object_version 6
	.text
	.protected	_Z7extractlPf           ; -- Begin function _Z7extractlPf
	.globl	_Z7extractlPf
	.p2align	8
	.type	_Z7extractlPf,@function
_Z7extractlPf:                          ; @_Z7extractlPf
; %bb.0:
	s_bfe_u32 s4, ttmp6, 0x4000c
	s_load_b128 s[0:3], s[0:1], 0x0
	s_add_co_i32 s4, s4, 1
	s_and_b32 s5, ttmp6, 15
	s_mul_i32 s4, ttmp9, s4
	s_getreg_b32 s6, hwreg(HW_REG_IB_STS2, 6, 4)
	s_add_co_i32 s5, s5, s4
	s_cmp_eq_u32 s6, 0
	s_cselect_b32 s4, ttmp9, s5
	s_delay_alu instid0(SALU_CYCLE_1) | instskip(NEXT) | instid1(VALU_DEP_1)
	v_lshl_add_u32 v0, s4, 8, v0
	v_ashrrev_i32_e32 v1, 31, v0
	s_wait_kmcnt 0x0
	s_delay_alu instid0(VALU_DEP_1)
	v_cmp_gt_i64_e32 vcc_lo, s[0:1], v[0:1]
	s_and_saveexec_b32 s0, vcc_lo
	s_cbranch_execz .LBB0_2
; %bb.1:
	v_lshl_add_u64 v[0:1], v[0:1], 2, s[2:3]
	global_load_b32 v2, v[0:1], off
	s_wait_loadcnt 0x0
	v_div_scale_f32 v3, null, 0x437f0000, 0x437f0000, v2
	v_div_scale_f32 v6, vcc_lo, v2, 0x437f0000, v2
	s_delay_alu instid0(VALU_DEP_2) | instskip(SKIP_1) | instid1(TRANS32_DEP_1)
	v_rcp_f32_e32 v4, v3
	v_nop
	v_fma_f32 v5, -v3, v4, 1.0
	s_delay_alu instid0(VALU_DEP_1) | instskip(NEXT) | instid1(VALU_DEP_1)
	v_fmac_f32_e32 v4, v5, v4
	v_mul_f32_e32 v5, v6, v4
	s_delay_alu instid0(VALU_DEP_1) | instskip(NEXT) | instid1(VALU_DEP_1)
	v_fma_f32 v7, -v3, v5, v6
	v_fmac_f32_e32 v5, v7, v4
	s_delay_alu instid0(VALU_DEP_1) | instskip(NEXT) | instid1(VALU_DEP_1)
	v_fma_f32 v3, -v3, v5, v6
	v_div_fmas_f32 v3, v3, v4, v5
	s_delay_alu instid0(VALU_DEP_1) | instskip(NEXT) | instid1(VALU_DEP_1)
	v_div_fixup_f32 v2, v3, 0x437f0000, v2
	v_mul_f32_e32 v3, 0x3fb8aa3b, v2
	v_cmp_ngt_f32_e32 vcc_lo, 0xc2ce8ed0, v2
	s_delay_alu instid0(VALU_DEP_2) | instskip(SKIP_1) | instid1(VALU_DEP_1)
	v_fma_f32 v4, 0x3fb8aa3b, v2, -v3
	v_rndne_f32_e32 v5, v3
	v_dual_fmamk_f32 v4, v2, 0x32a5705f, v4 :: v_dual_sub_f32 v3, v3, v5
	s_delay_alu instid0(VALU_DEP_1) | instskip(SKIP_1) | instid1(VALU_DEP_2)
	v_add_f32_e32 v3, v3, v4
	v_cvt_i32_f32_e32 v4, v5
	v_exp_f32_e32 v3, v3
	v_nop
	s_delay_alu instid0(TRANS32_DEP_1) | instskip(NEXT) | instid1(VALU_DEP_1)
	v_ldexp_f32 v3, v3, v4
	v_cndmask_b32_e32 v3, 0, v3, vcc_lo
	v_cmp_nlt_f32_e32 vcc_lo, 0x42b17218, v2
	s_delay_alu instid0(VALU_DEP_2)
	v_cndmask_b32_e32 v2, 0x7f800000, v3, vcc_lo
	global_store_b32 v[0:1], v2, off
.LBB0_2:
	s_endpgm
	.section	.rodata,"a",@progbits
	.p2align	6, 0x0
	.amdhsa_kernel _Z7extractlPf
		.amdhsa_group_segment_fixed_size 0
		.amdhsa_private_segment_fixed_size 0
		.amdhsa_kernarg_size 16
		.amdhsa_user_sgpr_count 2
		.amdhsa_user_sgpr_dispatch_ptr 0
		.amdhsa_user_sgpr_queue_ptr 0
		.amdhsa_user_sgpr_kernarg_segment_ptr 1
		.amdhsa_user_sgpr_dispatch_id 0
		.amdhsa_user_sgpr_kernarg_preload_length 0
		.amdhsa_user_sgpr_kernarg_preload_offset 0
		.amdhsa_user_sgpr_private_segment_size 0
		.amdhsa_wavefront_size32 1
		.amdhsa_uses_dynamic_stack 0
		.amdhsa_enable_private_segment 0
		.amdhsa_system_sgpr_workgroup_id_x 1
		.amdhsa_system_sgpr_workgroup_id_y 0
		.amdhsa_system_sgpr_workgroup_id_z 0
		.amdhsa_system_sgpr_workgroup_info 0
		.amdhsa_system_vgpr_workitem_id 0
		.amdhsa_next_free_vgpr 8
		.amdhsa_next_free_sgpr 7
		.amdhsa_named_barrier_count 0
		.amdhsa_reserve_vcc 1
		.amdhsa_float_round_mode_32 0
		.amdhsa_float_round_mode_16_64 0
		.amdhsa_float_denorm_mode_32 3
		.amdhsa_float_denorm_mode_16_64 3
		.amdhsa_fp16_overflow 0
		.amdhsa_memory_ordered 1
		.amdhsa_forward_progress 1
		.amdhsa_inst_pref_size 3
		.amdhsa_round_robin_scheduling 0
		.amdhsa_exception_fp_ieee_invalid_op 0
		.amdhsa_exception_fp_denorm_src 0
		.amdhsa_exception_fp_ieee_div_zero 0
		.amdhsa_exception_fp_ieee_overflow 0
		.amdhsa_exception_fp_ieee_underflow 0
		.amdhsa_exception_fp_ieee_inexact 0
		.amdhsa_exception_int_div_zero 0
	.end_amdhsa_kernel
	.text
.Lfunc_end0:
	.size	_Z7extractlPf, .Lfunc_end0-_Z7extractlPf
                                        ; -- End function
	.set _Z7extractlPf.num_vgpr, 8
	.set _Z7extractlPf.num_agpr, 0
	.set _Z7extractlPf.numbered_sgpr, 7
	.set _Z7extractlPf.num_named_barrier, 0
	.set _Z7extractlPf.private_seg_size, 0
	.set _Z7extractlPf.uses_vcc, 1
	.set _Z7extractlPf.uses_flat_scratch, 0
	.set _Z7extractlPf.has_dyn_sized_stack, 0
	.set _Z7extractlPf.has_recursion, 0
	.set _Z7extractlPf.has_indirect_call, 0
	.section	.AMDGPU.csdata,"",@progbits
; Kernel info:
; codeLenInByte = 332
; TotalNumSgprs: 9
; NumVgprs: 8
; ScratchSize: 0
; MemoryBound: 0
; FloatMode: 240
; IeeeMode: 1
; LDSByteSize: 0 bytes/workgroup (compile time only)
; SGPRBlocks: 0
; VGPRBlocks: 0
; NumSGPRsForWavesPerEU: 9
; NumVGPRsForWavesPerEU: 8
; NamedBarCnt: 0
; Occupancy: 16
; WaveLimiterHint : 0
; COMPUTE_PGM_RSRC2:SCRATCH_EN: 0
; COMPUTE_PGM_RSRC2:USER_SGPR: 2
; COMPUTE_PGM_RSRC2:TRAP_HANDLER: 0
; COMPUTE_PGM_RSRC2:TGID_X_EN: 1
; COMPUTE_PGM_RSRC2:TGID_Y_EN: 0
; COMPUTE_PGM_RSRC2:TGID_Z_EN: 0
; COMPUTE_PGM_RSRC2:TIDIG_COMP_CNT: 0
	.text
	.protected	_Z7preparelPKfPfS1_     ; -- Begin function _Z7preparelPKfPfS1_
	.globl	_Z7preparelPKfPfS1_
	.p2align	8
	.type	_Z7preparelPKfPfS1_,@function
_Z7preparelPKfPfS1_:                    ; @_Z7preparelPKfPfS1_
; %bb.0:
	s_bfe_u32 s2, ttmp6, 0x4000c
	s_load_b256 s[4:11], s[0:1], 0x0
	s_add_co_i32 s2, s2, 1
	s_wait_xcnt 0x0
	s_and_b32 s0, ttmp6, 15
	s_mul_i32 s1, ttmp9, s2
	s_getreg_b32 s2, hwreg(HW_REG_IB_STS2, 6, 4)
	s_add_co_i32 s0, s0, s1
	s_cmp_eq_u32 s2, 0
	s_cselect_b32 s0, ttmp9, s0
	s_delay_alu instid0(SALU_CYCLE_1) | instskip(SKIP_1) | instid1(VALU_DEP_1)
	v_lshl_add_u32 v0, s0, 8, v0
	s_mov_b32 s0, exec_lo
	v_ashrrev_i32_e32 v1, 31, v0
	s_wait_kmcnt 0x0
	s_delay_alu instid0(VALU_DEP_1)
	v_cmpx_gt_i64_e64 s[4:5], v[0:1]
	s_cbranch_execz .LBB1_2
; %bb.1:
	v_lshlrev_b64_e32 v[0:1], 2, v[0:1]
	s_delay_alu instid0(VALU_DEP_1)
	v_add_nc_u64_e32 v[2:3], s[6:7], v[0:1]
	global_load_b32 v4, v[2:3], off
	s_wait_xcnt 0x0
	v_add_nc_u64_e32 v[2:3], s[8:9], v[0:1]
	v_add_nc_u64_e32 v[0:1], s[10:11], v[0:1]
	s_wait_loadcnt 0x0
	v_mul_f32_e32 v5, v4, v4
	global_store_b32 v[2:3], v4, off
	global_store_b32 v[0:1], v5, off
.LBB1_2:
	s_endpgm
	.section	.rodata,"a",@progbits
	.p2align	6, 0x0
	.amdhsa_kernel _Z7preparelPKfPfS1_
		.amdhsa_group_segment_fixed_size 0
		.amdhsa_private_segment_fixed_size 0
		.amdhsa_kernarg_size 32
		.amdhsa_user_sgpr_count 2
		.amdhsa_user_sgpr_dispatch_ptr 0
		.amdhsa_user_sgpr_queue_ptr 0
		.amdhsa_user_sgpr_kernarg_segment_ptr 1
		.amdhsa_user_sgpr_dispatch_id 0
		.amdhsa_user_sgpr_kernarg_preload_length 0
		.amdhsa_user_sgpr_kernarg_preload_offset 0
		.amdhsa_user_sgpr_private_segment_size 0
		.amdhsa_wavefront_size32 1
		.amdhsa_uses_dynamic_stack 0
		.amdhsa_enable_private_segment 0
		.amdhsa_system_sgpr_workgroup_id_x 1
		.amdhsa_system_sgpr_workgroup_id_y 0
		.amdhsa_system_sgpr_workgroup_id_z 0
		.amdhsa_system_sgpr_workgroup_info 0
		.amdhsa_system_vgpr_workitem_id 0
		.amdhsa_next_free_vgpr 6
		.amdhsa_next_free_sgpr 12
		.amdhsa_named_barrier_count 0
		.amdhsa_reserve_vcc 0
		.amdhsa_float_round_mode_32 0
		.amdhsa_float_round_mode_16_64 0
		.amdhsa_float_denorm_mode_32 3
		.amdhsa_float_denorm_mode_16_64 3
		.amdhsa_fp16_overflow 0
		.amdhsa_memory_ordered 1
		.amdhsa_forward_progress 1
		.amdhsa_inst_pref_size 2
		.amdhsa_round_robin_scheduling 0
		.amdhsa_exception_fp_ieee_invalid_op 0
		.amdhsa_exception_fp_denorm_src 0
		.amdhsa_exception_fp_ieee_div_zero 0
		.amdhsa_exception_fp_ieee_overflow 0
		.amdhsa_exception_fp_ieee_underflow 0
		.amdhsa_exception_fp_ieee_inexact 0
		.amdhsa_exception_int_div_zero 0
	.end_amdhsa_kernel
	.text
.Lfunc_end1:
	.size	_Z7preparelPKfPfS1_, .Lfunc_end1-_Z7preparelPKfPfS1_
                                        ; -- End function
	.set _Z7preparelPKfPfS1_.num_vgpr, 6
	.set _Z7preparelPKfPfS1_.num_agpr, 0
	.set _Z7preparelPKfPfS1_.numbered_sgpr, 12
	.set _Z7preparelPKfPfS1_.num_named_barrier, 0
	.set _Z7preparelPKfPfS1_.private_seg_size, 0
	.set _Z7preparelPKfPfS1_.uses_vcc, 0
	.set _Z7preparelPKfPfS1_.uses_flat_scratch, 0
	.set _Z7preparelPKfPfS1_.has_dyn_sized_stack, 0
	.set _Z7preparelPKfPfS1_.has_recursion, 0
	.set _Z7preparelPKfPfS1_.has_indirect_call, 0
	.section	.AMDGPU.csdata,"",@progbits
; Kernel info:
; codeLenInByte = 160
; TotalNumSgprs: 12
; NumVgprs: 6
; ScratchSize: 0
; MemoryBound: 0
; FloatMode: 240
; IeeeMode: 1
; LDSByteSize: 0 bytes/workgroup (compile time only)
; SGPRBlocks: 0
; VGPRBlocks: 0
; NumSGPRsForWavesPerEU: 12
; NumVGPRsForWavesPerEU: 6
; NamedBarCnt: 0
; Occupancy: 16
; WaveLimiterHint : 0
; COMPUTE_PGM_RSRC2:SCRATCH_EN: 0
; COMPUTE_PGM_RSRC2:USER_SGPR: 2
; COMPUTE_PGM_RSRC2:TRAP_HANDLER: 0
; COMPUTE_PGM_RSRC2:TGID_X_EN: 1
; COMPUTE_PGM_RSRC2:TGID_Y_EN: 0
; COMPUTE_PGM_RSRC2:TGID_Z_EN: 0
; COMPUTE_PGM_RSRC2:TIDIG_COMP_CNT: 0
	.text
	.protected	_Z6reduceliiPfS_        ; -- Begin function _Z6reduceliiPfS_
	.globl	_Z6reduceliiPfS_
	.p2align	8
	.type	_Z6reduceliiPfS_,@function
_Z6reduceliiPfS_:                       ; @_Z6reduceliiPfS_
; %bb.0:
	s_clause 0x1
	s_load_b64 s[2:3], s[0:1], 0x8
	s_load_b128 s[4:7], s[0:1], 0x10
	s_bfe_u32 s9, ttmp6, 0x4000c
	s_wait_xcnt 0x0
	s_load_b32 s0, s[0:1], 0x20
	s_add_co_i32 s9, s9, 1
	s_and_b32 s8, ttmp6, 15
	s_wait_xcnt 0x0
	s_mul_i32 s1, ttmp9, s9
	s_getreg_b32 s9, hwreg(HW_REG_IB_STS2, 6, 4)
	s_add_co_i32 s8, s8, s1
	s_cmp_eq_u32 s9, 0
	s_mov_b32 s13, 0
	s_cselect_b32 s12, ttmp9, s8
	s_mov_b32 s1, exec_lo
	s_lshl_b32 s8, s12, 8
	s_delay_alu instid0(SALU_CYCLE_1) | instskip(SKIP_1) | instid1(VALU_DEP_1)
	v_dual_lshlrev_b32 v1, 2, v0 :: v_dual_add_nc_u32 v2, s8, v0
	s_wait_kmcnt 0x0
	v_cmpx_gt_i32_e64 s2, v2
	s_cbranch_execz .LBB2_2
; %bb.1:
	v_mul_lo_u32 v2, s3, v2
	s_clause 0x1
	global_load_b32 v3, v2, s[4:5] scale_offset
	global_load_b32 v4, v2, s[6:7] scale_offset
	s_wait_loadcnt 0x0
	ds_store_2addr_stride64_b32 v1, v3, v4 offset1:4
.LBB2_2:
	s_or_b32 exec_lo, exec_lo, s1
	s_lshl_b32 s9, s0, 8
	s_wait_dscnt 0x0
	s_cmp_lg_u32 s2, s9
	s_barrier_signal -1
	s_barrier_wait -1
	s_cbranch_scc0 .LBB2_23
; %bb.3:
	s_add_co_i32 s0, s0, -1
	s_mov_b32 s10, -1
	s_cmp_lg_u32 s12, s0
	s_cbranch_scc0 .LBB2_24
; %bb.4:
	v_and_b32_e32 v3, 1, v0
	v_add_nc_u32_e32 v2, 0x400, v1
	s_mov_b32 s0, exec_lo
	s_delay_alu instid0(VALU_DEP_2)
	v_cmpx_eq_u32_e32 1, v3
	s_cbranch_execz .LBB2_6
; %bb.5:
	v_add_nc_u32_e32 v3, -4, v1
	v_lshl_add_u32 v6, v0, 2, 0x3fc
	ds_load_2addr_b32 v[4:5], v3 offset1:1
	ds_load_2addr_b32 v[6:7], v6 offset1:1
	s_wait_dscnt 0x0
	v_dual_add_f32 v3, v5, v4 :: v_dual_add_f32 v4, v7, v6
	ds_store_b32 v1, v3
	ds_store_b32 v2, v4
.LBB2_6:
	s_or_b32 exec_lo, exec_lo, s0
	v_add_nc_u32_e32 v3, 1, v0
	s_mov_b32 s0, exec_lo
	s_wait_dscnt 0x0
	s_barrier_signal -1
	s_barrier_wait -1
	v_and_b32_e32 v4, 3, v3
	s_delay_alu instid0(VALU_DEP_1)
	v_cmpx_eq_u32_e32 0, v4
	s_cbranch_execz .LBB2_8
; %bb.7:
	v_add_nc_u32_e32 v4, -8, v1
	ds_load_b32 v5, v1
	ds_load_b32 v6, v1 offset:1016
	ds_load_b32 v4, v4
	ds_load_b32 v7, v2
	s_wait_dscnt 0x0
	v_dual_add_f32 v4, v5, v4 :: v_dual_add_f32 v5, v7, v6
	ds_store_b32 v1, v4
	ds_store_b32 v2, v5
.LBB2_8:
	s_or_b32 exec_lo, exec_lo, s0
	v_and_b32_e32 v4, 7, v3
	s_mov_b32 s0, exec_lo
	s_wait_dscnt 0x0
	s_barrier_signal -1
	s_barrier_wait -1
	v_cmpx_eq_u32_e32 0, v4
	s_cbranch_execz .LBB2_10
; %bb.9:
	v_add_nc_u32_e32 v4, -16, v1
	ds_load_b32 v5, v1
	ds_load_b32 v6, v1 offset:1008
	ds_load_b32 v4, v4
	ds_load_b32 v7, v2
	s_wait_dscnt 0x0
	v_dual_add_f32 v4, v5, v4 :: v_dual_add_f32 v5, v7, v6
	ds_store_b32 v1, v4
	ds_store_b32 v2, v5
.LBB2_10:
	s_or_b32 exec_lo, exec_lo, s0
	v_and_b32_e32 v4, 15, v3
	s_mov_b32 s0, exec_lo
	s_wait_dscnt 0x0
	s_barrier_signal -1
	s_barrier_wait -1
	v_cmpx_eq_u32_e32 0, v4
	s_cbranch_execz .LBB2_12
; %bb.11:
	v_subrev_nc_u32_e32 v4, 32, v1
	ds_load_b32 v5, v1
	ds_load_b32 v6, v1 offset:992
	ds_load_b32 v4, v4
	ds_load_b32 v7, v2
	s_wait_dscnt 0x0
	v_dual_add_f32 v4, v5, v4 :: v_dual_add_f32 v5, v7, v6
	ds_store_b32 v1, v4
	ds_store_b32 v2, v5
.LBB2_12:
	s_or_b32 exec_lo, exec_lo, s0
	v_and_b32_e32 v4, 31, v3
	s_mov_b32 s0, exec_lo
	s_wait_dscnt 0x0
	s_barrier_signal -1
	s_barrier_wait -1
	v_cmpx_eq_u32_e32 0, v4
	s_cbranch_execz .LBB2_14
; %bb.13:
	v_subrev_nc_u32_e32 v4, 64, v1
	ds_load_b32 v5, v1
	ds_load_b32 v6, v1 offset:960
	ds_load_b32 v4, v4
	ds_load_b32 v7, v2
	s_wait_dscnt 0x0
	v_dual_add_f32 v4, v5, v4 :: v_dual_add_f32 v5, v7, v6
	ds_store_b32 v1, v4
	ds_store_b32 v2, v5
.LBB2_14:
	s_or_b32 exec_lo, exec_lo, s0
	v_and_b32_e32 v4, 63, v3
	s_mov_b32 s0, exec_lo
	s_wait_dscnt 0x0
	s_barrier_signal -1
	s_barrier_wait -1
	v_cmpx_eq_u32_e32 0, v4
	s_cbranch_execz .LBB2_16
; %bb.15:
	v_add_nc_u32_e32 v4, 0xffffff80, v1
	ds_load_b32 v5, v1
	ds_load_b32 v6, v1 offset:896
	ds_load_b32 v4, v4
	ds_load_b32 v7, v2
	s_wait_dscnt 0x0
	v_dual_add_f32 v4, v5, v4 :: v_dual_add_f32 v5, v7, v6
	ds_store_b32 v1, v4
	ds_store_b32 v2, v5
.LBB2_16:
	s_or_b32 exec_lo, exec_lo, s0
	v_and_b32_e32 v4, 0x7f, v3
	s_mov_b32 s0, exec_lo
	s_wait_dscnt 0x0
	s_barrier_signal -1
	s_barrier_wait -1
	v_cmpx_eq_u32_e32 0, v4
	s_cbranch_execz .LBB2_18
; %bb.17:
	v_add_nc_u32_e32 v4, 0xffffff00, v1
	ds_load_b32 v5, v1
	ds_load_b32 v6, v1 offset:768
	ds_load_b32 v4, v4
	ds_load_b32 v7, v2
	s_wait_dscnt 0x0
	v_dual_add_f32 v4, v5, v4 :: v_dual_add_f32 v5, v7, v6
	ds_store_b32 v1, v4
	ds_store_b32 v2, v5
.LBB2_18:
	;; [unrolled: 19-line block ×3, first 2 shown]
	s_or_b32 exec_lo, exec_lo, s0
	s_delay_alu instid0(SALU_CYCLE_1)
	s_mov_b32 s10, exec_lo
	s_wait_dscnt 0x0
	s_barrier_signal -1
	s_barrier_wait -1
                                        ; implicit-def: $vgpr2
                                        ; implicit-def: $sgpr0_sgpr1
	v_cmpx_eq_u32_e32 0xff, v0
	s_xor_b32 s10, exec_lo, s10
	s_cbranch_execz .LBB2_22
; %bb.21:
	v_add_nc_u32_e64 v2, 0xfc, 0
	s_mul_i32 s0, s3, s12
	s_mov_b32 s13, exec_lo
	s_lshl_b32 s0, s0, 8
	s_delay_alu instid0(SALU_CYCLE_1)
	s_ashr_i32 s1, s0, 31
	ds_load_2addr_stride64_b32 v[4:5], v2 offset0:3 offset1:7
	s_wait_dscnt 0x0
	v_dual_mov_b32 v3, s0 :: v_dual_mov_b32 v2, v5
	global_store_b32 v3, v4, s[4:5] scale_offset
.LBB2_22:
	s_wait_xcnt 0x0
	s_or_b32 exec_lo, exec_lo, s10
	s_branch .LBB2_39
.LBB2_23:
                                        ; implicit-def: $vgpr2
                                        ; implicit-def: $sgpr0_sgpr1
	s_cbranch_execnz .LBB2_40
	s_branch .LBB2_59
.LBB2_24:
                                        ; implicit-def: $vgpr2
                                        ; implicit-def: $sgpr0_sgpr1
	s_and_b32 vcc_lo, exec_lo, s10
	s_cbranch_vccz .LBB2_39
; %bb.25:
	s_sub_co_i32 s0, s2, s9
	s_delay_alu instid0(SALU_CYCLE_1) | instskip(NEXT) | instid1(SALU_CYCLE_1)
	s_add_co_i32 s2, s0, 0x100
	s_cmp_lt_i32 s2, 2
	s_cselect_b32 s1, 0, 2
	s_cmp_lt_i32 s2, 4
	s_cselect_b32 s1, s1, 4
	;; [unrolled: 2-line block ×7, first 2 shown]
	s_cmp_gt_u32 s0, 0x7ffffeff
	s_cselect_b32 s9, s1, 0x100
	s_mov_b32 s1, 2
	s_cmp_lg_u32 s9, 0
	s_cbranch_scc0 .LBB2_30
; %bb.26:
	v_add_nc_u32_e32 v2, 1, v0
	v_add_nc_u32_e32 v3, 0x400, v1
	v_cmp_gt_u32_e32 vcc_lo, s9, v0
	s_branch .LBB2_28
.LBB2_27:                               ;   in Loop: Header=BB2_28 Depth=1
	s_or_b32 exec_lo, exec_lo, s0
	s_lshl_b32 s1, s1, 1
	s_wait_storecnt_dscnt 0x0
	s_cmp_le_u32 s1, s9
	s_barrier_signal -1
	s_barrier_wait -1
	s_cbranch_scc0 .LBB2_30
.LBB2_28:                               ; =>This Inner Loop Header: Depth=1
	s_add_co_i32 s0, s1, -1
	s_delay_alu instid0(SALU_CYCLE_1) | instskip(NEXT) | instid1(VALU_DEP_1)
	v_and_b32_e32 v4, s0, v2
	v_cmp_eq_u32_e64 s0, 0, v4
	s_and_b32 s10, s0, vcc_lo
	s_delay_alu instid0(SALU_CYCLE_1)
	s_and_saveexec_b32 s0, s10
	s_cbranch_execz .LBB2_27
; %bb.29:                               ;   in Loop: Header=BB2_28 Depth=1
	s_lshr_b32 s10, s1, 1
	s_delay_alu instid0(SALU_CYCLE_1) | instskip(NEXT) | instid1(VALU_DEP_1)
	v_subrev_nc_u32_e32 v4, s10, v0
	v_lshlrev_b32_e32 v4, 2, v4
	ds_load_2addr_stride64_b32 v[4:5], v4 offset1:4
	ds_load_b32 v6, v1
	ds_load_b32 v7, v3
	s_wait_dscnt 0x0
	v_dual_add_f32 v4, v6, v4 :: v_dual_add_f32 v5, v7, v5
	ds_store_b32 v1, v4
	ds_store_b32 v3, v5
	s_branch .LBB2_27
.LBB2_30:
	s_add_co_i32 s0, s9, -1
	s_mov_b32 s10, -1
	v_cmp_eq_u32_e32 vcc_lo, s0, v0
                                        ; implicit-def: $vgpr2
                                        ; implicit-def: $sgpr0_sgpr1
	s_and_saveexec_b32 s14, vcc_lo
	s_cbranch_execz .LBB2_38
; %bb.31:
	v_lshl_add_u32 v4, v0, 2, 0x400
	s_cmp_lt_i32 s9, s2
                                        ; implicit-def: $vgpr3
	s_cbranch_scc1 .LBB2_33
; %bb.32:
	ds_load_b32 v3, v1
	ds_load_b32 v2, v4
	s_mov_b32 s10, 0
.LBB2_33:
	s_delay_alu instid0(SALU_CYCLE_1)
	s_and_not1_b32 vcc_lo, exec_lo, s10
	s_cbranch_vccnz .LBB2_37
; %bb.34:
	s_wait_dscnt 0x1
	ds_load_b32 v3, v1
	s_wait_dscnt 0x1
	ds_load_b32 v2, v4
	s_add_co_i32 s0, s9, s8
	v_mov_b32_e32 v5, 0
	s_ashr_i32 s1, s0, 31
	s_add_co_i32 s2, s2, s8
	s_lshl_b64 s[10:11], s[0:1], 2
	s_delay_alu instid0(SALU_CYCLE_1)
	s_add_nc_u64 s[8:9], s[4:5], s[10:11]
	s_add_nc_u64 s[10:11], s[6:7], s[10:11]
.LBB2_35:                               ; =>This Inner Loop Header: Depth=1
	s_clause 0x1
	global_load_b32 v7, v5, s[8:9]
	global_load_b32 v6, v5, s[10:11]
	s_add_co_i32 s0, s0, 1
	s_wait_xcnt 0x1
	s_add_nc_u64 s[8:9], s[8:9], 4
	s_cmp_lt_i32 s0, s2
	s_wait_xcnt 0x0
	s_add_nc_u64 s[10:11], s[10:11], 4
	s_wait_loadcnt_dscnt 0x0
	v_pk_add_f32 v[2:3], v[2:3], v[6:7]
	s_cbranch_scc1 .LBB2_35
; %bb.36:
	ds_store_b32 v1, v3
	ds_store_b32 v4, v2
.LBB2_37:
	s_mul_i32 s0, s3, s12
	s_or_b32 s13, s13, exec_lo
	s_lshl_b32 s0, s0, 8
	s_delay_alu instid0(SALU_CYCLE_1)
	v_mov_b32_e32 v4, s0
	s_ashr_i32 s1, s0, 31
	s_wait_dscnt 0x1
	global_store_b32 v4, v3, s[4:5] scale_offset
.LBB2_38:
	s_wait_xcnt 0x0
	s_or_b32 exec_lo, exec_lo, s14
.LBB2_39:
	s_branch .LBB2_59
.LBB2_40:
	v_and_b32_e32 v3, 1, v0
	s_wait_dscnt 0x0
	v_add_nc_u32_e32 v2, 0x400, v1
	s_mov_b32 s0, exec_lo
	s_delay_alu instid0(VALU_DEP_2)
	v_cmpx_eq_u32_e32 1, v3
	s_cbranch_execz .LBB2_42
; %bb.41:
	v_add_nc_u32_e32 v3, -4, v1
	v_lshl_add_u32 v6, v0, 2, 0x3fc
	ds_load_2addr_b32 v[4:5], v3 offset1:1
	ds_load_2addr_b32 v[6:7], v6 offset1:1
	s_wait_dscnt 0x0
	v_dual_add_f32 v3, v5, v4 :: v_dual_add_f32 v4, v7, v6
	ds_store_b32 v1, v3
	ds_store_b32 v2, v4
.LBB2_42:
	s_or_b32 exec_lo, exec_lo, s0
	v_add_nc_u32_e32 v3, 1, v0
	s_mov_b32 s0, exec_lo
	s_wait_storecnt_dscnt 0x0
	s_barrier_signal -1
	s_barrier_wait -1
	v_and_b32_e32 v4, 3, v3
	s_delay_alu instid0(VALU_DEP_1)
	v_cmpx_eq_u32_e32 0, v4
	s_cbranch_execz .LBB2_44
; %bb.43:
	v_add_nc_u32_e32 v4, -8, v1
	ds_load_b32 v5, v1
	ds_load_b32 v6, v1 offset:1016
	ds_load_b32 v4, v4
	ds_load_b32 v7, v2
	s_wait_dscnt 0x0
	v_dual_add_f32 v4, v5, v4 :: v_dual_add_f32 v5, v7, v6
	ds_store_b32 v1, v4
	ds_store_b32 v2, v5
.LBB2_44:
	s_or_b32 exec_lo, exec_lo, s0
	v_and_b32_e32 v4, 7, v3
	s_mov_b32 s0, exec_lo
	s_wait_dscnt 0x0
	s_barrier_signal -1
	s_barrier_wait -1
	v_cmpx_eq_u32_e32 0, v4
	s_cbranch_execz .LBB2_46
; %bb.45:
	v_add_nc_u32_e32 v4, -16, v1
	ds_load_b32 v5, v1
	ds_load_b32 v6, v1 offset:1008
	ds_load_b32 v4, v4
	ds_load_b32 v7, v2
	s_wait_dscnt 0x0
	v_dual_add_f32 v4, v5, v4 :: v_dual_add_f32 v5, v7, v6
	ds_store_b32 v1, v4
	ds_store_b32 v2, v5
.LBB2_46:
	s_or_b32 exec_lo, exec_lo, s0
	v_and_b32_e32 v4, 15, v3
	s_mov_b32 s0, exec_lo
	s_wait_dscnt 0x0
	s_barrier_signal -1
	s_barrier_wait -1
	v_cmpx_eq_u32_e32 0, v4
	s_cbranch_execz .LBB2_48
; %bb.47:
	v_subrev_nc_u32_e32 v4, 32, v1
	ds_load_b32 v5, v1
	ds_load_b32 v6, v1 offset:992
	ds_load_b32 v4, v4
	ds_load_b32 v7, v2
	s_wait_dscnt 0x0
	v_dual_add_f32 v4, v5, v4 :: v_dual_add_f32 v5, v7, v6
	ds_store_b32 v1, v4
	ds_store_b32 v2, v5
.LBB2_48:
	s_or_b32 exec_lo, exec_lo, s0
	v_and_b32_e32 v4, 31, v3
	s_mov_b32 s0, exec_lo
	s_wait_dscnt 0x0
	s_barrier_signal -1
	s_barrier_wait -1
	v_cmpx_eq_u32_e32 0, v4
	s_cbranch_execz .LBB2_50
; %bb.49:
	v_subrev_nc_u32_e32 v4, 64, v1
	ds_load_b32 v5, v1
	ds_load_b32 v6, v1 offset:960
	ds_load_b32 v4, v4
	ds_load_b32 v7, v2
	s_wait_dscnt 0x0
	v_dual_add_f32 v4, v5, v4 :: v_dual_add_f32 v5, v7, v6
	ds_store_b32 v1, v4
	ds_store_b32 v2, v5
.LBB2_50:
	s_or_b32 exec_lo, exec_lo, s0
	v_and_b32_e32 v4, 63, v3
	s_mov_b32 s0, exec_lo
	s_wait_dscnt 0x0
	s_barrier_signal -1
	s_barrier_wait -1
	v_cmpx_eq_u32_e32 0, v4
	s_cbranch_execz .LBB2_52
; %bb.51:
	v_add_nc_u32_e32 v4, 0xffffff80, v1
	ds_load_b32 v5, v1
	ds_load_b32 v6, v1 offset:896
	ds_load_b32 v4, v4
	ds_load_b32 v7, v2
	s_wait_dscnt 0x0
	v_dual_add_f32 v4, v5, v4 :: v_dual_add_f32 v5, v7, v6
	ds_store_b32 v1, v4
	ds_store_b32 v2, v5
.LBB2_52:
	s_or_b32 exec_lo, exec_lo, s0
	v_and_b32_e32 v4, 0x7f, v3
	s_mov_b32 s0, exec_lo
	s_wait_dscnt 0x0
	s_barrier_signal -1
	s_barrier_wait -1
	v_cmpx_eq_u32_e32 0, v4
	s_cbranch_execz .LBB2_54
; %bb.53:
	v_add_nc_u32_e32 v4, 0xffffff00, v1
	ds_load_b32 v5, v1
	ds_load_b32 v6, v1 offset:768
	ds_load_b32 v4, v4
	ds_load_b32 v7, v2
	s_wait_dscnt 0x0
	v_dual_add_f32 v4, v5, v4 :: v_dual_add_f32 v5, v7, v6
	ds_store_b32 v1, v4
	ds_store_b32 v2, v5
.LBB2_54:
	;; [unrolled: 19-line block ×3, first 2 shown]
	s_or_b32 exec_lo, exec_lo, s0
	s_delay_alu instid0(SALU_CYCLE_1)
	s_mov_b32 s2, exec_lo
	s_wait_dscnt 0x0
	s_barrier_signal -1
	s_barrier_wait -1
                                        ; implicit-def: $vgpr2
                                        ; implicit-def: $sgpr0_sgpr1
	v_cmpx_eq_u32_e32 0xff, v0
	s_cbranch_execz .LBB2_58
; %bb.57:
	v_add_nc_u32_e64 v0, 0xfc, 0
	s_mul_i32 s0, s3, s12
	s_or_b32 s13, s13, exec_lo
	s_lshl_b32 s0, s0, 8
	s_delay_alu instid0(SALU_CYCLE_1)
	s_ashr_i32 s1, s0, 31
	ds_load_2addr_stride64_b32 v[0:1], v0 offset0:3 offset1:7
	s_wait_dscnt 0x0
	v_dual_mov_b32 v3, s0 :: v_dual_mov_b32 v2, v1
	global_store_b32 v3, v0, s[4:5] scale_offset
.LBB2_58:
	s_wait_xcnt 0x0
	s_or_b32 exec_lo, exec_lo, s2
.LBB2_59:
	s_and_saveexec_b32 s2, s13
	s_cbranch_execnz .LBB2_61
; %bb.60:
	s_endpgm
.LBB2_61:
	v_mov_b32_e32 v0, 0
	s_lshl_b64 s[0:1], s[0:1], 2
	s_delay_alu instid0(SALU_CYCLE_1)
	s_add_nc_u64 s[0:1], s[6:7], s[0:1]
	s_wait_dscnt 0x0
	global_store_b32 v0, v2, s[0:1]
	s_endpgm
	.section	.rodata,"a",@progbits
	.p2align	6, 0x0
	.amdhsa_kernel _Z6reduceliiPfS_
		.amdhsa_group_segment_fixed_size 2048
		.amdhsa_private_segment_fixed_size 0
		.amdhsa_kernarg_size 288
		.amdhsa_user_sgpr_count 2
		.amdhsa_user_sgpr_dispatch_ptr 0
		.amdhsa_user_sgpr_queue_ptr 0
		.amdhsa_user_sgpr_kernarg_segment_ptr 1
		.amdhsa_user_sgpr_dispatch_id 0
		.amdhsa_user_sgpr_kernarg_preload_length 0
		.amdhsa_user_sgpr_kernarg_preload_offset 0
		.amdhsa_user_sgpr_private_segment_size 0
		.amdhsa_wavefront_size32 1
		.amdhsa_uses_dynamic_stack 0
		.amdhsa_enable_private_segment 0
		.amdhsa_system_sgpr_workgroup_id_x 1
		.amdhsa_system_sgpr_workgroup_id_y 0
		.amdhsa_system_sgpr_workgroup_id_z 0
		.amdhsa_system_sgpr_workgroup_info 0
		.amdhsa_system_vgpr_workitem_id 0
		.amdhsa_next_free_vgpr 8
		.amdhsa_next_free_sgpr 15
		.amdhsa_named_barrier_count 0
		.amdhsa_reserve_vcc 1
		.amdhsa_float_round_mode_32 0
		.amdhsa_float_round_mode_16_64 0
		.amdhsa_float_denorm_mode_32 3
		.amdhsa_float_denorm_mode_16_64 3
		.amdhsa_fp16_overflow 0
		.amdhsa_memory_ordered 1
		.amdhsa_forward_progress 1
		.amdhsa_inst_pref_size 21
		.amdhsa_round_robin_scheduling 0
		.amdhsa_exception_fp_ieee_invalid_op 0
		.amdhsa_exception_fp_denorm_src 0
		.amdhsa_exception_fp_ieee_div_zero 0
		.amdhsa_exception_fp_ieee_overflow 0
		.amdhsa_exception_fp_ieee_underflow 0
		.amdhsa_exception_fp_ieee_inexact 0
		.amdhsa_exception_int_div_zero 0
	.end_amdhsa_kernel
	.text
.Lfunc_end2:
	.size	_Z6reduceliiPfS_, .Lfunc_end2-_Z6reduceliiPfS_
                                        ; -- End function
	.set _Z6reduceliiPfS_.num_vgpr, 8
	.set _Z6reduceliiPfS_.num_agpr, 0
	.set _Z6reduceliiPfS_.numbered_sgpr, 15
	.set _Z6reduceliiPfS_.num_named_barrier, 0
	.set _Z6reduceliiPfS_.private_seg_size, 0
	.set _Z6reduceliiPfS_.uses_vcc, 1
	.set _Z6reduceliiPfS_.uses_flat_scratch, 0
	.set _Z6reduceliiPfS_.has_dyn_sized_stack, 0
	.set _Z6reduceliiPfS_.has_recursion, 0
	.set _Z6reduceliiPfS_.has_indirect_call, 0
	.section	.AMDGPU.csdata,"",@progbits
; Kernel info:
; codeLenInByte = 2604
; TotalNumSgprs: 17
; NumVgprs: 8
; ScratchSize: 0
; MemoryBound: 0
; FloatMode: 240
; IeeeMode: 1
; LDSByteSize: 2048 bytes/workgroup (compile time only)
; SGPRBlocks: 0
; VGPRBlocks: 0
; NumSGPRsForWavesPerEU: 17
; NumVGPRsForWavesPerEU: 8
; NamedBarCnt: 0
; Occupancy: 16
; WaveLimiterHint : 0
; COMPUTE_PGM_RSRC2:SCRATCH_EN: 0
; COMPUTE_PGM_RSRC2:USER_SGPR: 2
; COMPUTE_PGM_RSRC2:TRAP_HANDLER: 0
; COMPUTE_PGM_RSRC2:TGID_X_EN: 1
; COMPUTE_PGM_RSRC2:TGID_Y_EN: 0
; COMPUTE_PGM_RSRC2:TGID_Z_EN: 0
; COMPUTE_PGM_RSRC2:TIDIG_COMP_CNT: 0
	.text
	.protected	_Z4sradfiilPKiS0_S0_S0_PfS1_S1_S1_fS1_PKf ; -- Begin function _Z4sradfiilPKiS0_S0_S0_PfS1_S1_S1_fS1_PKf
	.globl	_Z4sradfiilPKiS0_S0_S0_PfS1_S1_S1_fS1_PKf
	.p2align	8
	.type	_Z4sradfiilPKiS0_S0_S0_PfS1_S1_S1_fS1_PKf,@function
_Z4sradfiilPKiS0_S0_S0_PfS1_S1_S1_fS1_PKf: ; @_Z4sradfiilPKiS0_S0_S0_PfS1_S1_S1_fS1_PKf
; %bb.0:
	s_bfe_u32 s2, ttmp6, 0x4000c
	s_load_b512 s[4:19], s[0:1], 0x10
	s_add_co_i32 s2, s2, 1
	s_and_b32 s3, ttmp6, 15
	s_mul_i32 s2, ttmp9, s2
	s_getreg_b32 s20, hwreg(HW_REG_IB_STS2, 6, 4)
	s_add_co_i32 s3, s3, s2
	s_cmp_eq_u32 s20, 0
	s_cselect_b32 s2, ttmp9, s3
	s_delay_alu instid0(SALU_CYCLE_1) | instskip(SKIP_1) | instid1(VALU_DEP_1)
	v_lshl_add_u32 v0, s2, 8, v0
	s_mov_b32 s2, exec_lo
	v_ashrrev_i32_e32 v1, 31, v0
	s_wait_kmcnt 0x0
	s_delay_alu instid0(VALU_DEP_1)
	v_cmpx_gt_i64_e64 s[4:5], v[0:1]
	s_cbranch_execz .LBB3_6
; %bb.1:
	s_clause 0x2
	s_load_b32 s2, s[0:1], 0x4
	s_load_b32 s3, s[0:1], 0x58
	s_load_b128 s[20:23], s[0:1], 0x60
	s_wait_kmcnt 0x0
	s_abs_i32 s4, s2
	s_delay_alu instid0(SALU_CYCLE_1) | instskip(SKIP_2) | instid1(SALU_CYCLE_1)
	s_cvt_f32_u32 s5, s4
	s_sub_co_i32 s24, 0, s4
	v_lshl_add_u64 v[8:9], v[0:1], 2, s[22:23]
	v_rcp_iflag_f32_e32 v2, s5
	v_nop
	s_delay_alu instid0(TRANS32_DEP_1) | instskip(SKIP_2) | instid1(VALU_DEP_1)
	v_readfirstlane_b32 s5, v2
	v_add_nc_u32_e32 v2, 1, v0
	s_mul_f32 s5, s5, 0x4f7ffffe
	v_sub_nc_u32_e32 v3, 0, v2
	s_delay_alu instid0(SALU_CYCLE_2) | instskip(NEXT) | instid1(VALU_DEP_1)
	s_cvt_u32_f32 s5, s5
	v_max_i32_e32 v3, v2, v3
	s_delay_alu instid0(SALU_CYCLE_2) | instskip(NEXT) | instid1(SALU_CYCLE_1)
	s_mul_i32 s24, s24, s5
	s_mul_hi_u32 s24, s5, s24
	s_delay_alu instid0(SALU_CYCLE_1)
	s_add_co_i32 s5, s5, s24
	s_delay_alu instid0(VALU_DEP_1) | instid1(SALU_CYCLE_1)
	v_mul_hi_u32 v4, v3, s5
	s_delay_alu instid0(VALU_DEP_1) | instskip(NEXT) | instid1(VALU_DEP_1)
	v_mul_lo_u32 v5, v4, s4
	v_dual_sub_nc_u32 v3, v3, v5 :: v_dual_add_nc_u32 v5, 1, v4
	s_delay_alu instid0(VALU_DEP_1) | instskip(SKIP_1) | instid1(VALU_DEP_3)
	v_subrev_nc_u32_e32 v6, s4, v3
	v_cmp_le_u32_e32 vcc_lo, s4, v3
	v_dual_cndmask_b32 v4, v4, v5, vcc_lo :: v_dual_bitop2_b32 v5, s2, v2 bitop3:0x14
	s_delay_alu instid0(VALU_DEP_1) | instskip(NEXT) | instid1(VALU_DEP_2)
	v_dual_cndmask_b32 v3, v3, v6 :: v_dual_add_nc_u32 v6, 1, v4
	v_ashrrev_i32_e32 v5, 31, v5
	s_delay_alu instid0(VALU_DEP_2) | instskip(NEXT) | instid1(VALU_DEP_3)
	v_cmp_le_u32_e32 vcc_lo, s4, v3
	v_cndmask_b32_e32 v3, v4, v6, vcc_lo
	s_delay_alu instid0(VALU_DEP_1) | instskip(NEXT) | instid1(VALU_DEP_1)
	v_xor_b32_e32 v3, v3, v5
	v_sub_nc_u32_e32 v4, v3, v5
	s_delay_alu instid0(VALU_DEP_1) | instskip(NEXT) | instid1(VALU_DEP_1)
	v_mul_lo_u32 v4, v4, s2
	v_sub_nc_u32_e32 v2, v2, v4
	s_delay_alu instid0(VALU_DEP_1)
	v_cmp_eq_u32_e32 vcc_lo, 0, v2
	v_sub_co_ci_u32_e64 v5, null, v3, v5, vcc_lo
	v_cndmask_b32_e64 v2, v2, s2, vcc_lo
	s_clause 0x1
	global_load_b32 v3, v5, s[12:13] scale_offset
	global_load_b32 v6, v5, s[10:11] scale_offset
	s_clause 0x1
	global_load_b32 v10, v2, s[6:7] offset:-4 scale_offset
	global_load_b32 v11, v2, s[8:9] offset:-4 scale_offset
	v_mul_lo_u32 v12, v5, s2
	global_load_b32 v8, v[8:9], off
	s_wait_loadcnt 0x4
	v_mul_lo_u32 v4, v3, s2
	s_wait_loadcnt 0x3
	v_mul_lo_u32 v6, v6, s2
	v_ashrrev_i32_e32 v3, 31, v2
	s_wait_loadcnt 0x1
	s_wait_xcnt 0x0
	v_dual_add_nc_u32 v10, v12, v10 :: v_dual_add_nc_u32 v9, v11, v12
	s_delay_alu instid0(VALU_DEP_3) | instskip(NEXT) | instid1(VALU_DEP_1)
	v_dual_ashrrev_i32 v5, 31, v4 :: v_dual_ashrrev_i32 v7, 31, v6
	v_add_nc_u64_e32 v[4:5], v[4:5], v[2:3]
	s_delay_alu instid0(VALU_DEP_2) | instskip(NEXT) | instid1(VALU_DEP_2)
	v_add_nc_u64_e32 v[2:3], v[6:7], v[2:3]
	v_lshl_add_u64 v[4:5], v[4:5], 2, s[22:23]
	s_clause 0x1
	global_load_b32 v6, v10, s[22:23] scale_offset
	global_load_b32 v7, v[4:5], off offset:-4
	v_lshl_add_u64 v[2:3], v[2:3], 2, s[22:23]
	s_clause 0x1
	global_load_b32 v4, v9, s[22:23] scale_offset
	global_load_b32 v12, v[2:3], off offset:-4
	s_wait_loadcnt 0x2
	s_wait_xcnt 0x0
	v_pk_add_f32 v[2:3], v[6:7], v[8:9] op_sel_hi:[1,0] neg_lo:[0,1] neg_hi:[0,1]
	s_delay_alu instid0(VALU_DEP_1) | instskip(SKIP_4) | instid1(VALU_DEP_2)
	v_pk_mul_f32 v[10:11], v[2:3], v[2:3]
	s_wait_loadcnt 0x1
	v_sub_f32_e32 v6, v4, v8
	v_mov_b32_e32 v5, v8
	s_wait_loadcnt 0x0
	v_dual_sub_f32 v4, v12, v8 :: v_dual_fma_f32 v7, v6, v6, v10
	s_delay_alu instid0(VALU_DEP_1) | instskip(NEXT) | instid1(VALU_DEP_2)
	v_pk_mul_f32 v[12:13], v[4:5], v[4:5]
	v_dual_add_f32 v5, v7, v11 :: v_dual_add_f32 v9, v2, v6
	s_delay_alu instid0(VALU_DEP_1) | instskip(NEXT) | instid1(VALU_DEP_2)
	v_add_f32_e32 v5, v5, v12
	v_add_f32_e32 v7, v9, v3
	s_delay_alu instid0(VALU_DEP_2) | instskip(SKIP_1) | instid1(VALU_DEP_2)
	v_div_scale_f32 v9, null, v13, v13, v5
	v_div_scale_f32 v16, vcc_lo, v5, v13, v5
	v_rcp_f32_e32 v11, v9
	v_nop
	s_delay_alu instid0(TRANS32_DEP_1) | instskip(NEXT) | instid1(VALU_DEP_1)
	v_fma_f32 v14, -v9, v11, 1.0
	v_dual_add_f32 v7, v7, v4 :: v_dual_fmac_f32 v11, v14, v11
	s_delay_alu instid0(VALU_DEP_1) | instskip(SKIP_1) | instid1(VALU_DEP_2)
	v_div_scale_f32 v10, null, v8, v8, v7
	v_div_scale_f32 v14, s2, v7, v8, v7
	v_rcp_f32_e32 v12, v10
	v_nop
	s_delay_alu instid0(TRANS32_DEP_1) | instskip(NEXT) | instid1(VALU_DEP_1)
	v_fma_f32 v15, -v10, v12, 1.0
	v_dual_fmac_f32 v12, v15, v12 :: v_dual_mul_f32 v15, v16, v11
	s_delay_alu instid0(VALU_DEP_1) | instskip(NEXT) | instid1(VALU_DEP_1)
	v_dual_mul_f32 v17, v14, v12 :: v_dual_fma_f32 v18, -v9, v15, v16
	v_fma_f32 v19, -v10, v17, v14
	s_delay_alu instid0(VALU_DEP_1) | instskip(NEXT) | instid1(VALU_DEP_1)
	v_dual_fmac_f32 v15, v18, v11 :: v_dual_fmac_f32 v17, v19, v12
	v_dual_fma_f32 v9, -v9, v15, v16 :: v_dual_fma_f32 v10, -v10, v17, v14
	s_delay_alu instid0(VALU_DEP_1) | instskip(SKIP_2) | instid1(VALU_DEP_2)
	v_div_fmas_f32 v9, v9, v11, v15
	s_mov_b32 vcc_lo, s2
	s_add_f32 s2, s3, 1.0
	v_div_fmas_f32 v10, v10, v12, v17
	s_delay_alu instid0(VALU_DEP_2) | instskip(NEXT) | instid1(SALU_CYCLE_1)
	v_div_fixup_f32 v5, v9, v13, v5
	s_mul_f32 s2, s3, s2
	s_delay_alu instid0(VALU_DEP_2) | instskip(NEXT) | instid1(VALU_DEP_1)
	v_div_fixup_f32 v7, v10, v8, v7
	v_dual_mov_b32 v8, 1.0 :: v_dual_mul_f32 v10, v7, v7
	s_delay_alu instid0(VALU_DEP_1) | instskip(NEXT) | instid1(VALU_DEP_2)
	v_fmamk_f32 v7, v7, 0x3e800000, v8
	v_mul_f32_e32 v8, 0xbd800000, v10
	s_delay_alu instid0(VALU_DEP_1) | instskip(NEXT) | instid1(VALU_DEP_1)
	v_dual_fmac_f32 v8, 0.5, v5 :: v_dual_mul_f32 v7, v7, v7
	v_div_scale_f32 v5, null, v7, v7, v8
	v_div_scale_f32 v11, vcc_lo, v8, v7, v8
	s_delay_alu instid0(VALU_DEP_2) | instskip(SKIP_1) | instid1(TRANS32_DEP_1)
	v_rcp_f32_e32 v9, v5
	v_nop
	v_fma_f32 v10, -v5, v9, 1.0
	s_delay_alu instid0(VALU_DEP_1) | instskip(NEXT) | instid1(VALU_DEP_1)
	v_fmac_f32_e32 v9, v10, v9
	v_mul_f32_e32 v10, v11, v9
	s_delay_alu instid0(VALU_DEP_1) | instskip(NEXT) | instid1(VALU_DEP_1)
	v_fma_f32 v12, -v5, v10, v11
	v_fmac_f32_e32 v10, v12, v9
	s_delay_alu instid0(VALU_DEP_1) | instskip(NEXT) | instid1(VALU_DEP_1)
	v_fma_f32 v5, -v5, v10, v11
	v_div_fmas_f32 v5, v5, v9, v10
	s_delay_alu instid0(VALU_DEP_1) | instskip(NEXT) | instid1(VALU_DEP_1)
	v_div_fixup_f32 v5, v5, v7, v8
	v_subrev_f32_e32 v5, s3, v5
	s_delay_alu instid0(VALU_DEP_1) | instskip(SKIP_1) | instid1(VALU_DEP_2)
	v_div_scale_f32 v7, null, s2, s2, v5
	v_div_scale_f32 v10, vcc_lo, v5, s2, v5
	v_rcp_f32_e32 v8, v7
	v_nop
	s_delay_alu instid0(TRANS32_DEP_1) | instskip(NEXT) | instid1(VALU_DEP_1)
	v_fma_f32 v9, -v7, v8, 1.0
	v_fmac_f32_e32 v8, v9, v8
	s_delay_alu instid0(VALU_DEP_1) | instskip(NEXT) | instid1(VALU_DEP_1)
	v_mul_f32_e32 v9, v10, v8
	v_fma_f32 v11, -v7, v9, v10
	s_delay_alu instid0(VALU_DEP_1) | instskip(NEXT) | instid1(VALU_DEP_1)
	v_fmac_f32_e32 v9, v11, v8
	v_fma_f32 v7, -v7, v9, v10
	s_delay_alu instid0(VALU_DEP_1) | instskip(NEXT) | instid1(VALU_DEP_1)
	v_div_fmas_f32 v7, v7, v8, v9
	v_div_fixup_f32 v5, v7, s2, v5
	s_mov_b32 s2, exec_lo
	s_delay_alu instid0(VALU_DEP_1) | instskip(NEXT) | instid1(VALU_DEP_1)
	v_add_f32_e32 v5, 1.0, v5
	v_div_scale_f32 v7, null, v5, v5, 1.0
	s_delay_alu instid0(VALU_DEP_1) | instskip(SKIP_1) | instid1(TRANS32_DEP_1)
	v_rcp_f32_e32 v8, v7
	v_nop
	v_fma_f32 v9, -v7, v8, 1.0
	s_delay_alu instid0(VALU_DEP_1) | instskip(SKIP_1) | instid1(VALU_DEP_1)
	v_fmac_f32_e32 v8, v9, v8
	v_div_scale_f32 v9, vcc_lo, 1.0, v5, 1.0
	v_mul_f32_e32 v10, v9, v8
	s_delay_alu instid0(VALU_DEP_1) | instskip(NEXT) | instid1(VALU_DEP_1)
	v_fma_f32 v11, -v7, v10, v9
	v_fmac_f32_e32 v10, v11, v8
	s_delay_alu instid0(VALU_DEP_1) | instskip(NEXT) | instid1(VALU_DEP_1)
	v_fma_f32 v7, -v7, v10, v9
	v_div_fmas_f32 v7, v7, v8, v10
	s_delay_alu instid0(VALU_DEP_1) | instskip(SKIP_1) | instid1(VALU_DEP_2)
	v_div_fixup_f32 v7, v7, v5, 1.0
	v_mov_b32_e32 v5, 0
	v_cmpx_ngt_f32_e32 0, v7
	s_cbranch_execz .LBB3_5
; %bb.2:
	s_mov_b32 s3, exec_lo
	v_cmpx_lt_f32_e32 1.0, v7
; %bb.3:
	v_mov_b32_e32 v7, 1.0
; %bb.4:
	s_or_b32 exec_lo, exec_lo, s3
	s_delay_alu instid0(VALU_DEP_1)
	v_mov_b32_e32 v5, v7
.LBB3_5:
	s_or_b32 exec_lo, exec_lo, s2
	s_load_b64 s[0:1], s[0:1], 0x50
	v_lshlrev_b64_e32 v[0:1], 2, v[0:1]
	s_delay_alu instid0(VALU_DEP_1)
	v_add_nc_u64_e32 v[8:9], s[14:15], v[0:1]
	v_add_nc_u64_e32 v[10:11], s[16:17], v[0:1]
	v_add_nc_u64_e32 v[14:15], s[18:19], v[0:1]
	s_wait_kmcnt 0x0
	v_add_nc_u64_e32 v[12:13], s[0:1], v[0:1]
	v_add_nc_u64_e32 v[0:1], s[20:21], v[0:1]
	global_store_b32 v[8:9], v2, off
	global_store_b32 v[10:11], v6, off
	global_store_b32 v[12:13], v3, off
	global_store_b32 v[14:15], v4, off
	global_store_b32 v[0:1], v5, off
.LBB3_6:
	s_endpgm
	.section	.rodata,"a",@progbits
	.p2align	6, 0x0
	.amdhsa_kernel _Z4sradfiilPKiS0_S0_S0_PfS1_S1_S1_fS1_PKf
		.amdhsa_group_segment_fixed_size 0
		.amdhsa_private_segment_fixed_size 0
		.amdhsa_kernarg_size 112
		.amdhsa_user_sgpr_count 2
		.amdhsa_user_sgpr_dispatch_ptr 0
		.amdhsa_user_sgpr_queue_ptr 0
		.amdhsa_user_sgpr_kernarg_segment_ptr 1
		.amdhsa_user_sgpr_dispatch_id 0
		.amdhsa_user_sgpr_kernarg_preload_length 0
		.amdhsa_user_sgpr_kernarg_preload_offset 0
		.amdhsa_user_sgpr_private_segment_size 0
		.amdhsa_wavefront_size32 1
		.amdhsa_uses_dynamic_stack 0
		.amdhsa_enable_private_segment 0
		.amdhsa_system_sgpr_workgroup_id_x 1
		.amdhsa_system_sgpr_workgroup_id_y 0
		.amdhsa_system_sgpr_workgroup_id_z 0
		.amdhsa_system_sgpr_workgroup_info 0
		.amdhsa_system_vgpr_workitem_id 0
		.amdhsa_next_free_vgpr 20
		.amdhsa_next_free_sgpr 25
		.amdhsa_named_barrier_count 0
		.amdhsa_reserve_vcc 1
		.amdhsa_float_round_mode_32 0
		.amdhsa_float_round_mode_16_64 0
		.amdhsa_float_denorm_mode_32 3
		.amdhsa_float_denorm_mode_16_64 3
		.amdhsa_fp16_overflow 0
		.amdhsa_memory_ordered 1
		.amdhsa_forward_progress 1
		.amdhsa_inst_pref_size 11
		.amdhsa_round_robin_scheduling 0
		.amdhsa_exception_fp_ieee_invalid_op 0
		.amdhsa_exception_fp_denorm_src 0
		.amdhsa_exception_fp_ieee_div_zero 0
		.amdhsa_exception_fp_ieee_overflow 0
		.amdhsa_exception_fp_ieee_underflow 0
		.amdhsa_exception_fp_ieee_inexact 0
		.amdhsa_exception_int_div_zero 0
	.end_amdhsa_kernel
	.text
.Lfunc_end3:
	.size	_Z4sradfiilPKiS0_S0_S0_PfS1_S1_S1_fS1_PKf, .Lfunc_end3-_Z4sradfiilPKiS0_S0_S0_PfS1_S1_S1_fS1_PKf
                                        ; -- End function
	.set _Z4sradfiilPKiS0_S0_S0_PfS1_S1_S1_fS1_PKf.num_vgpr, 20
	.set _Z4sradfiilPKiS0_S0_S0_PfS1_S1_S1_fS1_PKf.num_agpr, 0
	.set _Z4sradfiilPKiS0_S0_S0_PfS1_S1_S1_fS1_PKf.numbered_sgpr, 25
	.set _Z4sradfiilPKiS0_S0_S0_PfS1_S1_S1_fS1_PKf.num_named_barrier, 0
	.set _Z4sradfiilPKiS0_S0_S0_PfS1_S1_S1_fS1_PKf.private_seg_size, 0
	.set _Z4sradfiilPKiS0_S0_S0_PfS1_S1_S1_fS1_PKf.uses_vcc, 1
	.set _Z4sradfiilPKiS0_S0_S0_PfS1_S1_S1_fS1_PKf.uses_flat_scratch, 0
	.set _Z4sradfiilPKiS0_S0_S0_PfS1_S1_S1_fS1_PKf.has_dyn_sized_stack, 0
	.set _Z4sradfiilPKiS0_S0_S0_PfS1_S1_S1_fS1_PKf.has_recursion, 0
	.set _Z4sradfiilPKiS0_S0_S0_PfS1_S1_S1_fS1_PKf.has_indirect_call, 0
	.section	.AMDGPU.csdata,"",@progbits
; Kernel info:
; codeLenInByte = 1360
; TotalNumSgprs: 27
; NumVgprs: 20
; ScratchSize: 0
; MemoryBound: 0
; FloatMode: 240
; IeeeMode: 1
; LDSByteSize: 0 bytes/workgroup (compile time only)
; SGPRBlocks: 0
; VGPRBlocks: 1
; NumSGPRsForWavesPerEU: 27
; NumVGPRsForWavesPerEU: 20
; NamedBarCnt: 0
; Occupancy: 16
; WaveLimiterHint : 1
; COMPUTE_PGM_RSRC2:SCRATCH_EN: 0
; COMPUTE_PGM_RSRC2:USER_SGPR: 2
; COMPUTE_PGM_RSRC2:TRAP_HANDLER: 0
; COMPUTE_PGM_RSRC2:TGID_X_EN: 1
; COMPUTE_PGM_RSRC2:TGID_Y_EN: 0
; COMPUTE_PGM_RSRC2:TGID_Z_EN: 0
; COMPUTE_PGM_RSRC2:TIDIG_COMP_CNT: 0
	.text
	.protected	_Z5srad2fiilPKiS0_S0_S0_PKfS2_S2_S2_S2_Pf ; -- Begin function _Z5srad2fiilPKiS0_S0_S0_PKfS2_S2_S2_S2_Pf
	.globl	_Z5srad2fiilPKiS0_S0_S0_PKfS2_S2_S2_S2_Pf
	.p2align	8
	.type	_Z5srad2fiilPKiS0_S0_S0_PKfS2_S2_S2_S2_Pf,@function
_Z5srad2fiilPKiS0_S0_S0_PKfS2_S2_S2_S2_Pf: ; @_Z5srad2fiilPKiS0_S0_S0_PKfS2_S2_S2_S2_Pf
; %bb.0:
	s_bfe_u32 s4, ttmp6, 0x4000c
	s_load_b64 s[2:3], s[0:1], 0x10
	s_add_co_i32 s4, s4, 1
	s_and_b32 s5, ttmp6, 15
	s_mul_i32 s4, ttmp9, s4
	s_getreg_b32 s6, hwreg(HW_REG_IB_STS2, 6, 4)
	s_add_co_i32 s5, s5, s4
	s_cmp_eq_u32 s6, 0
	s_cselect_b32 s4, ttmp9, s5
	s_delay_alu instid0(SALU_CYCLE_1) | instskip(NEXT) | instid1(VALU_DEP_1)
	v_lshl_add_u32 v0, s4, 8, v0
	v_ashrrev_i32_e32 v1, 31, v0
	s_wait_kmcnt 0x0
	s_delay_alu instid0(VALU_DEP_1)
	v_cmp_gt_i64_e32 vcc_lo, s[2:3], v[0:1]
	s_and_saveexec_b32 s2, vcc_lo
	s_cbranch_execz .LBB4_2
; %bb.1:
	s_clause 0x1
	s_load_b64 s[2:3], s[0:1], 0x0
	s_load_b128 s[4:7], s[0:1], 0x20
	s_wait_kmcnt 0x0
	s_abs_i32 s8, s3
	s_delay_alu instid0(SALU_CYCLE_1) | instskip(SKIP_1) | instid1(SALU_CYCLE_2)
	s_cvt_f32_u32 s9, s8
	s_sub_co_i32 s10, 0, s8
	v_rcp_iflag_f32_e32 v2, s9
	v_nop
	s_delay_alu instid0(TRANS32_DEP_1) | instskip(SKIP_3) | instid1(VALU_DEP_2)
	v_readfirstlane_b32 s9, v2
	v_add_nc_u32_e32 v2, 1, v0
	v_lshlrev_b64_e32 v[0:1], 2, v[0:1]
	s_mul_f32 s9, s9, 0x4f7ffffe
	v_sub_nc_u32_e32 v3, 0, v2
	s_delay_alu instid0(SALU_CYCLE_2) | instskip(NEXT) | instid1(VALU_DEP_1)
	s_cvt_u32_f32 s9, s9
	v_max_i32_e32 v3, v2, v3
	s_delay_alu instid0(SALU_CYCLE_2) | instskip(NEXT) | instid1(SALU_CYCLE_1)
	s_mul_i32 s10, s10, s9
	s_mul_hi_u32 s10, s9, s10
	s_delay_alu instid0(SALU_CYCLE_1)
	s_add_co_i32 s9, s9, s10
	s_delay_alu instid0(VALU_DEP_1) | instid1(SALU_CYCLE_1)
	v_mul_hi_u32 v4, v3, s9
	s_delay_alu instid0(VALU_DEP_1) | instskip(NEXT) | instid1(VALU_DEP_1)
	v_mul_lo_u32 v5, v4, s8
	v_dual_sub_nc_u32 v3, v3, v5 :: v_dual_add_nc_u32 v5, 1, v4
	s_delay_alu instid0(VALU_DEP_1) | instskip(SKIP_1) | instid1(VALU_DEP_3)
	v_subrev_nc_u32_e32 v6, s8, v3
	v_cmp_le_u32_e32 vcc_lo, s8, v3
	v_dual_cndmask_b32 v4, v4, v5, vcc_lo :: v_dual_bitop2_b32 v5, s3, v2 bitop3:0x14
	s_delay_alu instid0(VALU_DEP_1) | instskip(NEXT) | instid1(VALU_DEP_2)
	v_dual_cndmask_b32 v3, v3, v6 :: v_dual_add_nc_u32 v6, 1, v4
	v_ashrrev_i32_e32 v5, 31, v5
	s_delay_alu instid0(VALU_DEP_2) | instskip(NEXT) | instid1(VALU_DEP_3)
	v_cmp_le_u32_e32 vcc_lo, s8, v3
	v_cndmask_b32_e32 v3, v4, v6, vcc_lo
	s_delay_alu instid0(VALU_DEP_1) | instskip(NEXT) | instid1(VALU_DEP_1)
	v_xor_b32_e32 v3, v3, v5
	v_sub_nc_u32_e32 v4, v3, v5
	s_delay_alu instid0(VALU_DEP_1) | instskip(NEXT) | instid1(VALU_DEP_1)
	v_mul_lo_u32 v4, v4, s3
	v_sub_nc_u32_e32 v2, v2, v4
	s_delay_alu instid0(VALU_DEP_1)
	v_cmp_eq_u32_e32 vcc_lo, 0, v2
	v_sub_co_ci_u32_e64 v5, null, v3, v5, vcc_lo
	v_cndmask_b32_e64 v2, v2, s3, vcc_lo
	global_load_b32 v3, v5, s[6:7] scale_offset
	global_load_b32 v12, v2, s[4:5] offset:-4 scale_offset
	s_clause 0x1
	s_load_b128 s[12:15], s[0:1], 0x58
	s_load_b256 s[4:11], s[0:1], 0x38
	s_wait_kmcnt 0x0
	v_add_nc_u64_e32 v[6:7], s[12:13], v[0:1]
	v_add_nc_u64_e32 v[10:11], s[10:11], v[0:1]
	;; [unrolled: 1-line block ×3, first 2 shown]
	global_load_b32 v14, v[6:7], off
	global_load_b32 v16, v[8:9], off
	;; [unrolled: 1-line block ×3, first 2 shown]
	s_wait_loadcnt 0x4
	v_mul_lo_u32 v4, v3, s3
	v_ashrrev_i32_e32 v3, 31, v2
	s_wait_loadcnt 0x3
	v_mad_u32 v15, v5, s3, v12
	v_add_nc_u64_e32 v[12:13], s[6:7], v[0:1]
	global_load_b32 v6, v[12:13], off
	global_load_b32 v8, v15, s[12:13] scale_offset
	v_ashrrev_i32_e32 v5, 31, v4
	s_delay_alu instid0(VALU_DEP_1) | instskip(SKIP_2) | instid1(VALU_DEP_3)
	v_add_nc_u64_e32 v[2:3], v[4:5], v[2:3]
	v_add_nc_u64_e32 v[4:5], s[8:9], v[0:1]
	;; [unrolled: 1-line block ×3, first 2 shown]
	v_lshl_add_u64 v[2:3], v[2:3], 2, s[12:13]
	global_load_b32 v7, v[2:3], off offset:-4
	global_load_b32 v9, v[4:5], off
	global_load_b32 v4, v[0:1], off
	s_wait_loadcnt 0x5
	v_pk_mul_f32 v[2:3], v[14:15], v[16:17] op_sel_hi:[0,1]
	s_wait_loadcnt 0x3
	s_delay_alu instid0(VALU_DEP_1) | instskip(NEXT) | instid1(VALU_DEP_1)
	v_dual_fma_f32 v2, v8, v6, v2 :: v_dual_mov_b32 v6, s2
	v_dual_mov_b32 v8, 0x3e800000 :: v_dual_add_f32 v5, v2, v3
	s_wait_loadcnt 0x1
	s_delay_alu instid0(VALU_DEP_1) | instskip(NEXT) | instid1(VALU_DEP_1)
	v_pk_mul_f32 v[2:3], v[6:7], v[8:9]
	v_add_f32_e32 v3, v5, v3
	s_wait_loadcnt 0x0
	s_delay_alu instid0(VALU_DEP_1)
	v_fmac_f32_e32 v4, v2, v3
	global_store_b32 v[0:1], v4, off
.LBB4_2:
	s_endpgm
	.section	.rodata,"a",@progbits
	.p2align	6, 0x0
	.amdhsa_kernel _Z5srad2fiilPKiS0_S0_S0_PKfS2_S2_S2_S2_Pf
		.amdhsa_group_segment_fixed_size 0
		.amdhsa_private_segment_fixed_size 0
		.amdhsa_kernarg_size 104
		.amdhsa_user_sgpr_count 2
		.amdhsa_user_sgpr_dispatch_ptr 0
		.amdhsa_user_sgpr_queue_ptr 0
		.amdhsa_user_sgpr_kernarg_segment_ptr 1
		.amdhsa_user_sgpr_dispatch_id 0
		.amdhsa_user_sgpr_kernarg_preload_length 0
		.amdhsa_user_sgpr_kernarg_preload_offset 0
		.amdhsa_user_sgpr_private_segment_size 0
		.amdhsa_wavefront_size32 1
		.amdhsa_uses_dynamic_stack 0
		.amdhsa_enable_private_segment 0
		.amdhsa_system_sgpr_workgroup_id_x 1
		.amdhsa_system_sgpr_workgroup_id_y 0
		.amdhsa_system_sgpr_workgroup_id_z 0
		.amdhsa_system_sgpr_workgroup_info 0
		.amdhsa_system_vgpr_workitem_id 0
		.amdhsa_next_free_vgpr 18
		.amdhsa_next_free_sgpr 16
		.amdhsa_named_barrier_count 0
		.amdhsa_reserve_vcc 1
		.amdhsa_float_round_mode_32 0
		.amdhsa_float_round_mode_16_64 0
		.amdhsa_float_denorm_mode_32 3
		.amdhsa_float_denorm_mode_16_64 3
		.amdhsa_fp16_overflow 0
		.amdhsa_memory_ordered 1
		.amdhsa_forward_progress 1
		.amdhsa_inst_pref_size 5
		.amdhsa_round_robin_scheduling 0
		.amdhsa_exception_fp_ieee_invalid_op 0
		.amdhsa_exception_fp_denorm_src 0
		.amdhsa_exception_fp_ieee_div_zero 0
		.amdhsa_exception_fp_ieee_overflow 0
		.amdhsa_exception_fp_ieee_underflow 0
		.amdhsa_exception_fp_ieee_inexact 0
		.amdhsa_exception_int_div_zero 0
	.end_amdhsa_kernel
	.text
.Lfunc_end4:
	.size	_Z5srad2fiilPKiS0_S0_S0_PKfS2_S2_S2_S2_Pf, .Lfunc_end4-_Z5srad2fiilPKiS0_S0_S0_PKfS2_S2_S2_S2_Pf
                                        ; -- End function
	.set _Z5srad2fiilPKiS0_S0_S0_PKfS2_S2_S2_S2_Pf.num_vgpr, 18
	.set _Z5srad2fiilPKiS0_S0_S0_PKfS2_S2_S2_S2_Pf.num_agpr, 0
	.set _Z5srad2fiilPKiS0_S0_S0_PKfS2_S2_S2_S2_Pf.numbered_sgpr, 16
	.set _Z5srad2fiilPKiS0_S0_S0_PKfS2_S2_S2_S2_Pf.num_named_barrier, 0
	.set _Z5srad2fiilPKiS0_S0_S0_PKfS2_S2_S2_S2_Pf.private_seg_size, 0
	.set _Z5srad2fiilPKiS0_S0_S0_PKfS2_S2_S2_S2_Pf.uses_vcc, 1
	.set _Z5srad2fiilPKiS0_S0_S0_PKfS2_S2_S2_S2_Pf.uses_flat_scratch, 0
	.set _Z5srad2fiilPKiS0_S0_S0_PKfS2_S2_S2_S2_Pf.has_dyn_sized_stack, 0
	.set _Z5srad2fiilPKiS0_S0_S0_PKfS2_S2_S2_S2_Pf.has_recursion, 0
	.set _Z5srad2fiilPKiS0_S0_S0_PKfS2_S2_S2_S2_Pf.has_indirect_call, 0
	.section	.AMDGPU.csdata,"",@progbits
; Kernel info:
; codeLenInByte = 636
; TotalNumSgprs: 18
; NumVgprs: 18
; ScratchSize: 0
; MemoryBound: 0
; FloatMode: 240
; IeeeMode: 1
; LDSByteSize: 0 bytes/workgroup (compile time only)
; SGPRBlocks: 0
; VGPRBlocks: 1
; NumSGPRsForWavesPerEU: 18
; NumVGPRsForWavesPerEU: 18
; NamedBarCnt: 0
; Occupancy: 16
; WaveLimiterHint : 1
; COMPUTE_PGM_RSRC2:SCRATCH_EN: 0
; COMPUTE_PGM_RSRC2:USER_SGPR: 2
; COMPUTE_PGM_RSRC2:TRAP_HANDLER: 0
; COMPUTE_PGM_RSRC2:TGID_X_EN: 1
; COMPUTE_PGM_RSRC2:TGID_Y_EN: 0
; COMPUTE_PGM_RSRC2:TGID_Z_EN: 0
; COMPUTE_PGM_RSRC2:TIDIG_COMP_CNT: 0
	.text
	.protected	_Z8compresslPf          ; -- Begin function _Z8compresslPf
	.globl	_Z8compresslPf
	.p2align	8
	.type	_Z8compresslPf,@function
_Z8compresslPf:                         ; @_Z8compresslPf
; %bb.0:
	s_bfe_u32 s4, ttmp6, 0x4000c
	s_load_b128 s[0:3], s[0:1], 0x0
	s_add_co_i32 s4, s4, 1
	s_and_b32 s5, ttmp6, 15
	s_mul_i32 s4, ttmp9, s4
	s_getreg_b32 s6, hwreg(HW_REG_IB_STS2, 6, 4)
	s_add_co_i32 s5, s5, s4
	s_cmp_eq_u32 s6, 0
	s_cselect_b32 s4, ttmp9, s5
	s_delay_alu instid0(SALU_CYCLE_1) | instskip(NEXT) | instid1(VALU_DEP_1)
	v_lshl_add_u32 v0, s4, 8, v0
	v_ashrrev_i32_e32 v1, 31, v0
	s_wait_kmcnt 0x0
	s_delay_alu instid0(VALU_DEP_1)
	v_cmp_gt_i64_e32 vcc_lo, s[0:1], v[0:1]
	s_and_saveexec_b32 s0, vcc_lo
	s_cbranch_execz .LBB5_2
; %bb.1:
	v_lshl_add_u64 v[0:1], v[0:1], 2, s[2:3]
	global_load_b32 v2, v[0:1], off
	s_wait_loadcnt 0x0
	v_cmp_gt_f32_e32 vcc_lo, 0x800000, v2
	v_cndmask_b32_e64 v3, 0, 32, vcc_lo
	s_delay_alu instid0(VALU_DEP_1) | instskip(NEXT) | instid1(VALU_DEP_1)
	v_ldexp_f32 v2, v2, v3
	v_log_f32_e32 v2, v2
	v_nop
	s_delay_alu instid0(TRANS32_DEP_1) | instskip(SKIP_1) | instid1(VALU_DEP_2)
	v_mul_f32_e32 v3, 0x3f317217, v2
	v_cmp_gt_f32_e64 s0, 0x7f800000, |v2|
	v_fma_f32 v3, 0x3f317217, v2, -v3
	s_delay_alu instid0(VALU_DEP_1) | instskip(NEXT) | instid1(VALU_DEP_1)
	v_fmamk_f32 v3, v2, 0x3377d1cf, v3
	v_fmac_f32_e32 v3, 0x3f317217, v2
	s_delay_alu instid0(VALU_DEP_1) | instskip(SKIP_1) | instid1(VALU_DEP_1)
	v_cndmask_b32_e64 v2, v2, v3, s0
	v_cndmask_b32_e64 v3, 0, 0x41b17218, vcc_lo
	v_sub_f32_e32 v2, v2, v3
	s_delay_alu instid0(VALU_DEP_1)
	v_mul_f32_e32 v2, 0x437f0000, v2
	global_store_b32 v[0:1], v2, off
.LBB5_2:
	s_endpgm
	.section	.rodata,"a",@progbits
	.p2align	6, 0x0
	.amdhsa_kernel _Z8compresslPf
		.amdhsa_group_segment_fixed_size 0
		.amdhsa_private_segment_fixed_size 0
		.amdhsa_kernarg_size 16
		.amdhsa_user_sgpr_count 2
		.amdhsa_user_sgpr_dispatch_ptr 0
		.amdhsa_user_sgpr_queue_ptr 0
		.amdhsa_user_sgpr_kernarg_segment_ptr 1
		.amdhsa_user_sgpr_dispatch_id 0
		.amdhsa_user_sgpr_kernarg_preload_length 0
		.amdhsa_user_sgpr_kernarg_preload_offset 0
		.amdhsa_user_sgpr_private_segment_size 0
		.amdhsa_wavefront_size32 1
		.amdhsa_uses_dynamic_stack 0
		.amdhsa_enable_private_segment 0
		.amdhsa_system_sgpr_workgroup_id_x 1
		.amdhsa_system_sgpr_workgroup_id_y 0
		.amdhsa_system_sgpr_workgroup_id_z 0
		.amdhsa_system_sgpr_workgroup_info 0
		.amdhsa_system_vgpr_workitem_id 0
		.amdhsa_next_free_vgpr 4
		.amdhsa_next_free_sgpr 7
		.amdhsa_named_barrier_count 0
		.amdhsa_reserve_vcc 1
		.amdhsa_float_round_mode_32 0
		.amdhsa_float_round_mode_16_64 0
		.amdhsa_float_denorm_mode_32 3
		.amdhsa_float_denorm_mode_16_64 3
		.amdhsa_fp16_overflow 0
		.amdhsa_memory_ordered 1
		.amdhsa_forward_progress 1
		.amdhsa_inst_pref_size 2
		.amdhsa_round_robin_scheduling 0
		.amdhsa_exception_fp_ieee_invalid_op 0
		.amdhsa_exception_fp_denorm_src 0
		.amdhsa_exception_fp_ieee_div_zero 0
		.amdhsa_exception_fp_ieee_overflow 0
		.amdhsa_exception_fp_ieee_underflow 0
		.amdhsa_exception_fp_ieee_inexact 0
		.amdhsa_exception_int_div_zero 0
	.end_amdhsa_kernel
	.text
.Lfunc_end5:
	.size	_Z8compresslPf, .Lfunc_end5-_Z8compresslPf
                                        ; -- End function
	.set _Z8compresslPf.num_vgpr, 4
	.set _Z8compresslPf.num_agpr, 0
	.set _Z8compresslPf.numbered_sgpr, 7
	.set _Z8compresslPf.num_named_barrier, 0
	.set _Z8compresslPf.private_seg_size, 0
	.set _Z8compresslPf.uses_vcc, 1
	.set _Z8compresslPf.uses_flat_scratch, 0
	.set _Z8compresslPf.has_dyn_sized_stack, 0
	.set _Z8compresslPf.has_recursion, 0
	.set _Z8compresslPf.has_indirect_call, 0
	.section	.AMDGPU.csdata,"",@progbits
; Kernel info:
; codeLenInByte = 252
; TotalNumSgprs: 9
; NumVgprs: 4
; ScratchSize: 0
; MemoryBound: 0
; FloatMode: 240
; IeeeMode: 1
; LDSByteSize: 0 bytes/workgroup (compile time only)
; SGPRBlocks: 0
; VGPRBlocks: 0
; NumSGPRsForWavesPerEU: 9
; NumVGPRsForWavesPerEU: 4
; NamedBarCnt: 0
; Occupancy: 16
; WaveLimiterHint : 0
; COMPUTE_PGM_RSRC2:SCRATCH_EN: 0
; COMPUTE_PGM_RSRC2:USER_SGPR: 2
; COMPUTE_PGM_RSRC2:TRAP_HANDLER: 0
; COMPUTE_PGM_RSRC2:TGID_X_EN: 1
; COMPUTE_PGM_RSRC2:TGID_Y_EN: 0
; COMPUTE_PGM_RSRC2:TGID_Z_EN: 0
; COMPUTE_PGM_RSRC2:TIDIG_COMP_CNT: 0
	.text
	.p2alignl 7, 3214868480
	.fill 96, 4, 3214868480
	.section	.AMDGPU.gpr_maximums,"",@progbits
	.set amdgpu.max_num_vgpr, 0
	.set amdgpu.max_num_agpr, 0
	.set amdgpu.max_num_sgpr, 0
	.text
	.type	__hip_cuid_b7900406cbbca5e6,@object ; @__hip_cuid_b7900406cbbca5e6
	.section	.bss,"aw",@nobits
	.globl	__hip_cuid_b7900406cbbca5e6
__hip_cuid_b7900406cbbca5e6:
	.byte	0                               ; 0x0
	.size	__hip_cuid_b7900406cbbca5e6, 1

	.ident	"AMD clang version 22.0.0git (https://github.com/RadeonOpenCompute/llvm-project roc-7.2.4 26084 f58b06dce1f9c15707c5f808fd002e18c2accf7e)"
	.section	".note.GNU-stack","",@progbits
	.addrsig
	.addrsig_sym __hip_cuid_b7900406cbbca5e6
	.amdgpu_metadata
---
amdhsa.kernels:
  - .args:
      - .offset:         0
        .size:           8
        .value_kind:     by_value
      - .address_space:  global
        .offset:         8
        .size:           8
        .value_kind:     global_buffer
    .group_segment_fixed_size: 0
    .kernarg_segment_align: 8
    .kernarg_segment_size: 16
    .language:       OpenCL C
    .language_version:
      - 2
      - 0
    .max_flat_workgroup_size: 1024
    .name:           _Z7extractlPf
    .private_segment_fixed_size: 0
    .sgpr_count:     9
    .sgpr_spill_count: 0
    .symbol:         _Z7extractlPf.kd
    .uniform_work_group_size: 1
    .uses_dynamic_stack: false
    .vgpr_count:     8
    .vgpr_spill_count: 0
    .wavefront_size: 32
  - .args:
      - .offset:         0
        .size:           8
        .value_kind:     by_value
      - .address_space:  global
        .offset:         8
        .size:           8
        .value_kind:     global_buffer
      - .address_space:  global
        .offset:         16
        .size:           8
        .value_kind:     global_buffer
      - .address_space:  global
        .offset:         24
        .size:           8
        .value_kind:     global_buffer
    .group_segment_fixed_size: 0
    .kernarg_segment_align: 8
    .kernarg_segment_size: 32
    .language:       OpenCL C
    .language_version:
      - 2
      - 0
    .max_flat_workgroup_size: 1024
    .name:           _Z7preparelPKfPfS1_
    .private_segment_fixed_size: 0
    .sgpr_count:     12
    .sgpr_spill_count: 0
    .symbol:         _Z7preparelPKfPfS1_.kd
    .uniform_work_group_size: 1
    .uses_dynamic_stack: false
    .vgpr_count:     6
    .vgpr_spill_count: 0
    .wavefront_size: 32
  - .args:
      - .offset:         0
        .size:           8
        .value_kind:     by_value
      - .offset:         8
        .size:           4
        .value_kind:     by_value
      - .offset:         12
        .size:           4
        .value_kind:     by_value
      - .address_space:  global
        .offset:         16
        .size:           8
        .value_kind:     global_buffer
      - .address_space:  global
        .offset:         24
        .size:           8
        .value_kind:     global_buffer
      - .offset:         32
        .size:           4
        .value_kind:     hidden_block_count_x
      - .offset:         36
        .size:           4
        .value_kind:     hidden_block_count_y
      - .offset:         40
        .size:           4
        .value_kind:     hidden_block_count_z
      - .offset:         44
        .size:           2
        .value_kind:     hidden_group_size_x
      - .offset:         46
        .size:           2
        .value_kind:     hidden_group_size_y
      - .offset:         48
        .size:           2
        .value_kind:     hidden_group_size_z
      - .offset:         50
        .size:           2
        .value_kind:     hidden_remainder_x
      - .offset:         52
        .size:           2
        .value_kind:     hidden_remainder_y
      - .offset:         54
        .size:           2
        .value_kind:     hidden_remainder_z
      - .offset:         72
        .size:           8
        .value_kind:     hidden_global_offset_x
      - .offset:         80
        .size:           8
        .value_kind:     hidden_global_offset_y
      - .offset:         88
        .size:           8
        .value_kind:     hidden_global_offset_z
      - .offset:         96
        .size:           2
        .value_kind:     hidden_grid_dims
    .group_segment_fixed_size: 2048
    .kernarg_segment_align: 8
    .kernarg_segment_size: 288
    .language:       OpenCL C
    .language_version:
      - 2
      - 0
    .max_flat_workgroup_size: 1024
    .name:           _Z6reduceliiPfS_
    .private_segment_fixed_size: 0
    .sgpr_count:     17
    .sgpr_spill_count: 0
    .symbol:         _Z6reduceliiPfS_.kd
    .uniform_work_group_size: 1
    .uses_dynamic_stack: false
    .vgpr_count:     8
    .vgpr_spill_count: 0
    .wavefront_size: 32
  - .args:
      - .offset:         0
        .size:           4
        .value_kind:     by_value
      - .offset:         4
        .size:           4
        .value_kind:     by_value
      - .offset:         8
        .size:           4
        .value_kind:     by_value
      - .offset:         16
        .size:           8
        .value_kind:     by_value
      - .address_space:  global
        .offset:         24
        .size:           8
        .value_kind:     global_buffer
      - .address_space:  global
        .offset:         32
        .size:           8
        .value_kind:     global_buffer
      - .address_space:  global
        .offset:         40
        .size:           8
        .value_kind:     global_buffer
      - .address_space:  global
        .offset:         48
        .size:           8
        .value_kind:     global_buffer
      - .address_space:  global
        .offset:         56
        .size:           8
        .value_kind:     global_buffer
      - .address_space:  global
        .offset:         64
        .size:           8
        .value_kind:     global_buffer
      - .address_space:  global
        .offset:         72
        .size:           8
        .value_kind:     global_buffer
      - .address_space:  global
        .offset:         80
        .size:           8
        .value_kind:     global_buffer
      - .offset:         88
        .size:           4
        .value_kind:     by_value
      - .address_space:  global
        .offset:         96
        .size:           8
        .value_kind:     global_buffer
      - .address_space:  global
        .offset:         104
        .size:           8
        .value_kind:     global_buffer
    .group_segment_fixed_size: 0
    .kernarg_segment_align: 8
    .kernarg_segment_size: 112
    .language:       OpenCL C
    .language_version:
      - 2
      - 0
    .max_flat_workgroup_size: 1024
    .name:           _Z4sradfiilPKiS0_S0_S0_PfS1_S1_S1_fS1_PKf
    .private_segment_fixed_size: 0
    .sgpr_count:     27
    .sgpr_spill_count: 0
    .symbol:         _Z4sradfiilPKiS0_S0_S0_PfS1_S1_S1_fS1_PKf.kd
    .uniform_work_group_size: 1
    .uses_dynamic_stack: false
    .vgpr_count:     20
    .vgpr_spill_count: 0
    .wavefront_size: 32
  - .args:
      - .offset:         0
        .size:           4
        .value_kind:     by_value
      - .offset:         4
        .size:           4
        .value_kind:     by_value
      - .offset:         8
        .size:           4
        .value_kind:     by_value
      - .offset:         16
        .size:           8
        .value_kind:     by_value
      - .address_space:  global
        .offset:         24
        .size:           8
        .value_kind:     global_buffer
      - .address_space:  global
        .offset:         32
        .size:           8
        .value_kind:     global_buffer
      - .address_space:  global
        .offset:         40
        .size:           8
        .value_kind:     global_buffer
      - .address_space:  global
        .offset:         48
        .size:           8
        .value_kind:     global_buffer
      - .address_space:  global
        .offset:         56
        .size:           8
        .value_kind:     global_buffer
      - .address_space:  global
        .offset:         64
        .size:           8
        .value_kind:     global_buffer
      - .address_space:  global
        .offset:         72
        .size:           8
        .value_kind:     global_buffer
      - .address_space:  global
        .offset:         80
        .size:           8
        .value_kind:     global_buffer
      - .address_space:  global
        .offset:         88
        .size:           8
        .value_kind:     global_buffer
      - .address_space:  global
        .offset:         96
        .size:           8
        .value_kind:     global_buffer
    .group_segment_fixed_size: 0
    .kernarg_segment_align: 8
    .kernarg_segment_size: 104
    .language:       OpenCL C
    .language_version:
      - 2
      - 0
    .max_flat_workgroup_size: 1024
    .name:           _Z5srad2fiilPKiS0_S0_S0_PKfS2_S2_S2_S2_Pf
    .private_segment_fixed_size: 0
    .sgpr_count:     18
    .sgpr_spill_count: 0
    .symbol:         _Z5srad2fiilPKiS0_S0_S0_PKfS2_S2_S2_S2_Pf.kd
    .uniform_work_group_size: 1
    .uses_dynamic_stack: false
    .vgpr_count:     18
    .vgpr_spill_count: 0
    .wavefront_size: 32
  - .args:
      - .offset:         0
        .size:           8
        .value_kind:     by_value
      - .address_space:  global
        .offset:         8
        .size:           8
        .value_kind:     global_buffer
    .group_segment_fixed_size: 0
    .kernarg_segment_align: 8
    .kernarg_segment_size: 16
    .language:       OpenCL C
    .language_version:
      - 2
      - 0
    .max_flat_workgroup_size: 1024
    .name:           _Z8compresslPf
    .private_segment_fixed_size: 0
    .sgpr_count:     9
    .sgpr_spill_count: 0
    .symbol:         _Z8compresslPf.kd
    .uniform_work_group_size: 1
    .uses_dynamic_stack: false
    .vgpr_count:     4
    .vgpr_spill_count: 0
    .wavefront_size: 32
amdhsa.target:   amdgcn-amd-amdhsa--gfx1250
amdhsa.version:
  - 1
  - 2
...

	.end_amdgpu_metadata
